;; amdgpu-corpus repo=ROCm/rocFFT kind=compiled arch=gfx906 opt=O3
	.text
	.amdgcn_target "amdgcn-amd-amdhsa--gfx906"
	.amdhsa_code_object_version 6
	.protected	bluestein_single_fwd_len250_dim1_sp_op_CI_CI ; -- Begin function bluestein_single_fwd_len250_dim1_sp_op_CI_CI
	.globl	bluestein_single_fwd_len250_dim1_sp_op_CI_CI
	.p2align	8
	.type	bluestein_single_fwd_len250_dim1_sp_op_CI_CI,@function
bluestein_single_fwd_len250_dim1_sp_op_CI_CI: ; @bluestein_single_fwd_len250_dim1_sp_op_CI_CI
; %bb.0:
	v_mul_u32_u24_e32 v1, 0xa3e, v0
	s_load_dwordx4 s[12:15], s[4:5], 0x28
	v_lshrrev_b32_e32 v1, 16, v1
	v_mad_u64_u32 v[36:37], s[0:1], s6, 5, v[1:2]
	v_mov_b32_e32 v37, 0
	s_waitcnt lgkmcnt(0)
	v_cmp_gt_u64_e32 vcc, s[12:13], v[36:37]
	s_and_saveexec_b64 s[0:1], vcc
	s_cbranch_execz .LBB0_2
; %bb.1:
	s_load_dwordx4 s[0:3], s[4:5], 0x18
	s_load_dwordx4 s[8:11], s[4:5], 0x0
	v_mul_lo_u16_e32 v1, 25, v1
	v_sub_u16_e32 v56, v0, v1
	v_mov_b32_e32 v7, s15
	s_waitcnt lgkmcnt(0)
	s_load_dwordx4 s[16:19], s[0:1], 0x0
	s_add_u32 s6, s8, 0x7d0
	s_addc_u32 s7, s9, 0
	v_lshlrev_b32_e32 v54, 3, v56
	s_movk_i32 s12, 0xcd
	s_waitcnt lgkmcnt(0)
	v_mad_u64_u32 v[0:1], s[0:1], s18, v36, 0
	v_mad_u64_u32 v[2:3], s[0:1], s16, v56, 0
	v_mad_u64_u32 v[4:5], s[0:1], s19, v36, v[1:2]
	v_mad_u64_u32 v[5:6], s[0:1], s17, v56, v[3:4]
	v_mov_b32_e32 v1, v4
	v_lshlrev_b64 v[0:1], 3, v[0:1]
	v_mov_b32_e32 v3, v5
	v_add_co_u32_e32 v4, vcc, s14, v0
	v_addc_co_u32_e32 v5, vcc, v7, v1, vcc
	v_lshlrev_b64 v[0:1], 3, v[2:3]
	s_mul_i32 s0, s17, 0xc8
	v_add_co_u32_e32 v0, vcc, v4, v0
	s_mul_hi_u32 s1, s16, 0xc8
	v_addc_co_u32_e32 v1, vcc, v5, v1, vcc
	s_add_i32 s0, s1, s0
	s_mul_i32 s1, s16, 0xc8
	global_load_dwordx2 v[2:3], v[0:1], off
	v_mov_b32_e32 v4, s0
	v_add_co_u32_e32 v0, vcc, s1, v0
	v_addc_co_u32_e32 v1, vcc, v1, v4, vcc
	v_mov_b32_e32 v5, s0
	v_add_co_u32_e32 v4, vcc, s1, v0
	v_addc_co_u32_e32 v5, vcc, v1, v5, vcc
	;; [unrolled: 3-line block ×4, first 2 shown]
	global_load_dwordx2 v[51:52], v54, s[8:9]
	global_load_dwordx2 v[49:50], v54, s[8:9] offset:200
	global_load_dwordx2 v[47:48], v54, s[8:9] offset:400
	;; [unrolled: 1-line block ×3, first 2 shown]
	global_load_dwordx2 v[10:11], v[0:1], off
	global_load_dwordx2 v[12:13], v[4:5], off
	global_load_dwordx2 v[14:15], v[6:7], off
	global_load_dwordx2 v[17:18], v[8:9], off
	v_mov_b32_e32 v1, s0
	v_add_co_u32_e32 v0, vcc, s1, v8
	v_addc_co_u32_e32 v1, vcc, v9, v1, vcc
	global_load_dwordx2 v[4:5], v[0:1], off
	global_load_dwordx2 v[45:46], v54, s[8:9] offset:800
	global_load_dwordx2 v[39:40], v54, s[8:9] offset:1000
	v_mov_b32_e32 v6, s0
	v_add_co_u32_e32 v0, vcc, s1, v0
	v_addc_co_u32_e32 v1, vcc, v1, v6, vcc
	global_load_dwordx2 v[6:7], v[0:1], off
	v_mov_b32_e32 v8, s0
	v_add_co_u32_e32 v0, vcc, s1, v0
	v_addc_co_u32_e32 v1, vcc, v1, v8, vcc
	global_load_dwordx2 v[8:9], v[0:1], off
	global_load_dwordx2 v[41:42], v54, s[8:9] offset:1200
	global_load_dwordx2 v[37:38], v54, s[8:9] offset:1400
	v_mov_b32_e32 v16, s0
	v_add_co_u32_e32 v0, vcc, s1, v0
	v_addc_co_u32_e32 v1, vcc, v1, v16, vcc
	global_load_dwordx2 v[19:20], v[0:1], off
	global_load_dwordx2 v[34:35], v54, s[8:9] offset:1600
	v_add_co_u32_e32 v0, vcc, s1, v0
	v_addc_co_u32_e32 v1, vcc, v1, v16, vcc
	global_load_dwordx2 v[21:22], v[0:1], off
	global_load_dwordx2 v[32:33], v54, s[8:9] offset:1800
	s_mov_b32 s0, 0xcccccccd
	v_mul_hi_u32 v0, v36, s0
	s_load_dwordx4 s[0:3], s[2:3], 0x0
	v_add_co_u32_e32 v66, vcc, 25, v56
	v_lshrrev_b32_e32 v0, 2, v0
	v_lshl_add_u32 v0, v0, 2, v0
	v_sub_u32_e32 v0, v36, v0
	v_mul_u32_u24_e32 v1, 0xfa, v0
	v_lshlrev_b32_e32 v16, 3, v1
	v_add_u32_e32 v55, v54, v16
	s_waitcnt vmcnt(18)
	v_mul_f32_e32 v0, v3, v52
	v_mul_f32_e32 v1, v2, v52
	v_fmac_f32_e32 v0, v2, v51
	v_fma_f32 v1, v3, v51, -v1
	s_waitcnt vmcnt(14)
	v_mul_f32_e32 v2, v11, v50
	v_mul_f32_e32 v3, v10, v50
	v_fmac_f32_e32 v2, v10, v49
	v_fma_f32 v3, v11, v49, -v3
	ds_write2_b64 v55, v[0:1], v[2:3] offset1:25
	s_waitcnt vmcnt(13)
	v_mul_f32_e32 v0, v13, v48
	v_mul_f32_e32 v1, v12, v48
	s_waitcnt vmcnt(12)
	v_mul_f32_e32 v2, v15, v44
	v_mul_f32_e32 v3, v14, v44
	v_fmac_f32_e32 v0, v12, v47
	v_fma_f32 v1, v13, v47, -v1
	v_fmac_f32_e32 v2, v14, v43
	v_fma_f32 v3, v15, v43, -v3
	ds_write2_b64 v55, v[0:1], v[2:3] offset0:50 offset1:75
	s_waitcnt vmcnt(9)
	v_mul_f32_e32 v0, v18, v46
	v_mul_f32_e32 v1, v17, v46
	s_waitcnt vmcnt(8)
	v_mul_f32_e32 v2, v5, v40
	v_mul_f32_e32 v3, v4, v40
	v_fmac_f32_e32 v0, v17, v45
	v_fma_f32 v1, v18, v45, -v1
	v_fmac_f32_e32 v2, v4, v39
	v_fma_f32 v3, v5, v39, -v3
	ds_write2_b64 v55, v[0:1], v[2:3] offset0:100 offset1:125
	;; [unrolled: 11-line block ×4, first 2 shown]
	s_waitcnt lgkmcnt(0)
	s_barrier
	ds_read2_b64 v[0:3], v55 offset1:25
	ds_read2_b64 v[4:7], v55 offset0:50 offset1:75
	ds_read2_b64 v[8:11], v55 offset0:100 offset1:125
	;; [unrolled: 1-line block ×4, first 2 shown]
	s_waitcnt lgkmcnt(0)
	v_add_f32_e32 v21, v0, v4
	v_sub_f32_e32 v26, v4, v8
	v_add_f32_e32 v22, v8, v12
	v_fma_f32 v22, -0.5, v22, v0
	v_sub_f32_e32 v23, v5, v18
	v_mov_b32_e32 v24, v22
	v_fmac_f32_e32 v24, 0x3f737871, v23
	v_sub_f32_e32 v25, v9, v13
	v_sub_f32_e32 v27, v17, v12
	v_fmac_f32_e32 v22, 0xbf737871, v23
	v_fmac_f32_e32 v24, 0x3f167918, v25
	v_add_f32_e32 v26, v26, v27
	v_fmac_f32_e32 v22, 0xbf167918, v25
	v_fmac_f32_e32 v24, 0x3e9e377a, v26
	v_fmac_f32_e32 v22, 0x3e9e377a, v26
	v_add_f32_e32 v26, v4, v17
	v_fma_f32 v26, -0.5, v26, v0
	v_mov_b32_e32 v27, v26
	v_fmac_f32_e32 v27, 0xbf737871, v25
	v_sub_f32_e32 v0, v8, v4
	v_sub_f32_e32 v28, v12, v17
	v_fmac_f32_e32 v26, 0x3f737871, v25
	v_fmac_f32_e32 v27, 0x3f167918, v23
	v_add_f32_e32 v0, v0, v28
	v_fmac_f32_e32 v26, 0xbf167918, v23
	v_fmac_f32_e32 v27, 0x3e9e377a, v0
	;; [unrolled: 1-line block ×3, first 2 shown]
	v_add_f32_e32 v0, v1, v5
	v_add_f32_e32 v0, v0, v9
	;; [unrolled: 1-line block ×5, first 2 shown]
	v_fma_f32 v25, -0.5, v0, v1
	v_add_f32_e32 v21, v21, v8
	v_sub_f32_e32 v0, v4, v17
	v_mov_b32_e32 v28, v25
	v_add_f32_e32 v21, v21, v12
	v_fmac_f32_e32 v28, 0xbf737871, v0
	v_sub_f32_e32 v4, v8, v12
	v_sub_f32_e32 v8, v5, v9
	;; [unrolled: 1-line block ×3, first 2 shown]
	v_fmac_f32_e32 v25, 0x3f737871, v0
	v_fmac_f32_e32 v28, 0xbf167918, v4
	v_add_f32_e32 v8, v8, v12
	v_fmac_f32_e32 v25, 0x3f167918, v4
	v_fmac_f32_e32 v28, 0x3e9e377a, v8
	;; [unrolled: 1-line block ×3, first 2 shown]
	v_add_f32_e32 v8, v5, v18
	v_fma_f32 v29, -0.5, v8, v1
	v_mov_b32_e32 v30, v29
	v_fmac_f32_e32 v30, 0x3f737871, v4
	v_fmac_f32_e32 v29, 0xbf737871, v4
	;; [unrolled: 1-line block ×4, first 2 shown]
	v_add_f32_e32 v0, v2, v6
	v_add_f32_e32 v0, v0, v10
	;; [unrolled: 1-line block ×3, first 2 shown]
	v_sub_f32_e32 v1, v9, v5
	v_sub_f32_e32 v5, v13, v18
	v_add_f32_e32 v12, v0, v19
	v_add_f32_e32 v0, v10, v14
	;; [unrolled: 1-line block ×3, first 2 shown]
	v_fma_f32 v9, -0.5, v0, v2
	v_fmac_f32_e32 v30, 0x3e9e377a, v1
	v_fmac_f32_e32 v29, 0x3e9e377a, v1
	v_sub_f32_e32 v0, v7, v20
	v_mov_b32_e32 v1, v9
	v_fmac_f32_e32 v1, 0x3f737871, v0
	v_sub_f32_e32 v4, v11, v15
	v_sub_f32_e32 v5, v6, v10
	;; [unrolled: 1-line block ×3, first 2 shown]
	v_fmac_f32_e32 v9, 0xbf737871, v0
	v_fmac_f32_e32 v1, 0x3f167918, v4
	v_add_f32_e32 v5, v5, v8
	v_fmac_f32_e32 v9, 0xbf167918, v4
	v_fmac_f32_e32 v1, 0x3e9e377a, v5
	;; [unrolled: 1-line block ×3, first 2 shown]
	v_add_f32_e32 v5, v6, v19
	v_fma_f32 v13, -0.5, v5, v2
	v_add_f32_e32 v21, v21, v17
	v_mov_b32_e32 v17, v13
	v_fmac_f32_e32 v17, 0xbf737871, v4
	v_fmac_f32_e32 v13, 0x3f737871, v4
	v_fmac_f32_e32 v17, 0x3f167918, v0
	v_fmac_f32_e32 v13, 0xbf167918, v0
	v_add_f32_e32 v0, v3, v7
	v_add_f32_e32 v0, v0, v11
	;; [unrolled: 1-line block ×5, first 2 shown]
	v_sub_f32_e32 v2, v10, v6
	v_sub_f32_e32 v5, v14, v19
	v_fma_f32 v31, -0.5, v0, v3
	v_add_f32_e32 v2, v2, v5
	v_sub_f32_e32 v0, v6, v19
	v_mov_b32_e32 v19, v31
	v_fmac_f32_e32 v17, 0x3e9e377a, v2
	v_fmac_f32_e32 v13, 0x3e9e377a, v2
	;; [unrolled: 1-line block ×3, first 2 shown]
	v_sub_f32_e32 v2, v10, v14
	v_sub_f32_e32 v4, v7, v11
	;; [unrolled: 1-line block ×3, first 2 shown]
	v_fmac_f32_e32 v31, 0x3f737871, v0
	v_fmac_f32_e32 v19, 0xbf167918, v2
	v_add_f32_e32 v4, v4, v5
	v_fmac_f32_e32 v31, 0x3f167918, v2
	v_fmac_f32_e32 v19, 0x3e9e377a, v4
	;; [unrolled: 1-line block ×3, first 2 shown]
	v_add_f32_e32 v4, v7, v20
	v_fmac_f32_e32 v3, -0.5, v4
	v_mov_b32_e32 v10, v3
	v_fmac_f32_e32 v10, 0x3f737871, v2
	v_sub_f32_e32 v4, v11, v7
	v_sub_f32_e32 v5, v15, v20
	v_fmac_f32_e32 v10, 0xbf167918, v0
	v_add_f32_e32 v4, v4, v5
	v_fmac_f32_e32 v3, 0xbf737871, v2
	v_fmac_f32_e32 v10, 0x3e9e377a, v4
	v_fmac_f32_e32 v3, 0x3f167918, v0
	v_fmac_f32_e32 v3, 0x3e9e377a, v4
	v_mul_f32_e32 v11, 0x3f4f1bbd, v1
	v_mul_f32_e32 v14, 0x3f737871, v10
	;; [unrolled: 1-line block ×5, first 2 shown]
	v_add_f32_e32 v4, v21, v12
	v_fmac_f32_e32 v11, 0x3f167918, v19
	v_fmac_f32_e32 v14, 0x3e9e377a, v17
	v_mul_f32_e32 v15, 0xbe9e377a, v13
	v_fmac_f32_e32 v20, 0x3f167918, v31
	v_fmac_f32_e32 v53, 0x3f4f1bbd, v19
	;; [unrolled: 1-line block ×3, first 2 shown]
	v_mul_f32_e32 v58, 0xbe9e377a, v3
	v_mul_f32_e32 v31, 0xbf4f1bbd, v31
	v_sub_f32_e32 v10, v21, v12
	v_mul_lo_u16_e32 v21, 10, v56
	v_add_f32_e32 v6, v24, v11
	v_add_f32_e32 v0, v27, v14
	v_fmac_f32_e32 v15, 0x3f737871, v3
	v_add_f32_e32 v5, v23, v18
	v_add_f32_e32 v7, v28, v53
	v_fmac_f32_e32 v58, 0xbf737871, v13
	v_fmac_f32_e32 v31, 0xbf167918, v9
	v_sub_f32_e32 v13, v28, v53
	v_lshl_add_u32 v53, v21, 3, v16
	v_add_f32_e32 v2, v26, v15
	v_add_f32_e32 v8, v22, v20
	;; [unrolled: 1-line block ×5, first 2 shown]
	v_sub_f32_e32 v12, v24, v11
	v_sub_f32_e32 v14, v27, v14
	;; [unrolled: 1-line block ×8, first 2 shown]
	s_barrier
	ds_write_b128 v53, v[4:7]
	ds_write_b128 v53, v[0:3] offset:16
	ds_write_b128 v53, v[8:11] offset:32
	;; [unrolled: 1-line block ×4, first 2 shown]
	v_mul_lo_u16_sdwa v0, v56, s12 dst_sel:DWORD dst_unused:UNUSED_PAD src0_sel:BYTE_0 src1_sel:DWORD
	v_lshrrev_b16_e32 v31, 11, v0
	v_mul_lo_u16_e32 v0, 10, v31
	v_sub_u16_e32 v65, v56, v0
	v_lshlrev_b16_e32 v0, 2, v65
	v_and_b32_e32 v0, 0xfc, v0
	v_lshlrev_b32_e32 v0, 3, v0
	s_waitcnt lgkmcnt(0)
	s_barrier
	global_load_dwordx4 v[8:11], v0, s[10:11]
	global_load_dwordx4 v[4:7], v0, s[10:11] offset:16
	v_mul_lo_u16_sdwa v0, v66, s12 dst_sel:DWORD dst_unused:UNUSED_PAD src0_sel:BYTE_0 src1_sel:DWORD
	v_lshrrev_b16_e32 v67, 11, v0
	v_mul_lo_u16_e32 v0, 10, v67
	v_sub_u16_e32 v68, v66, v0
	v_mov_b32_e32 v0, 5
	v_lshlrev_b32_sdwa v17, v0, v68 dst_sel:DWORD dst_unused:UNUSED_PAD src0_sel:DWORD src1_sel:BYTE_0
	global_load_dwordx4 v[12:15], v17, s[10:11]
	global_load_dwordx4 v[0:3], v17, s[10:11] offset:16
	ds_read2_b64 v[17:20], v55 offset0:50 offset1:75
	ds_read2_b64 v[21:24], v55 offset1:25
	ds_read2_b64 v[25:28], v55 offset0:100 offset1:125
	ds_read2_b64 v[57:60], v55 offset0:150 offset1:175
	;; [unrolled: 1-line block ×3, first 2 shown]
	v_mad_legacy_u16 v31, v31, 50, v65
	v_and_b32_e32 v31, 0xff, v31
	s_waitcnt vmcnt(0) lgkmcnt(0)
	s_barrier
	v_mul_f32_e32 v29, v18, v9
	v_fma_f32 v29, v17, v8, -v29
	v_mul_f32_e32 v30, v17, v9
	v_mul_f32_e32 v17, v26, v11
	v_fma_f32 v69, v25, v10, -v17
	v_mul_f32_e32 v70, v25, v11
	v_mul_f32_e32 v17, v58, v5
	v_fmac_f32_e32 v70, v26, v10
	v_fma_f32 v26, v57, v4, -v17
	v_mul_f32_e32 v57, v57, v5
	v_mul_f32_e32 v17, v62, v7
	v_fmac_f32_e32 v57, v58, v4
	;; [unrolled: 4-line block ×3, first 2 shown]
	v_fma_f32 v62, v19, v12, -v17
	v_mul_f32_e32 v17, v28, v15
	v_fma_f32 v72, v27, v14, -v17
	v_mul_f32_e32 v17, v60, v1
	;; [unrolled: 2-line block ×3, first 2 shown]
	v_mul_f32_e32 v17, v64, v3
	v_fmac_f32_e32 v75, v60, v0
	v_fma_f32 v60, v63, v2, -v17
	v_add_f32_e32 v17, v21, v29
	v_add_f32_e32 v17, v17, v69
	v_fmac_f32_e32 v30, v18, v8
	v_add_f32_e32 v18, v17, v26
	v_add_f32_e32 v17, v69, v26
	v_mul_f32_e32 v71, v19, v13
	v_fma_f32 v17, -0.5, v17, v21
	v_fmac_f32_e32 v71, v20, v12
	v_mul_f32_e32 v73, v27, v15
	v_sub_f32_e32 v20, v30, v61
	v_mov_b32_e32 v19, v17
	v_fmac_f32_e32 v73, v28, v14
	v_fmac_f32_e32 v19, 0x3f737871, v20
	v_sub_f32_e32 v27, v70, v57
	v_sub_f32_e32 v25, v29, v69
	v_sub_f32_e32 v28, v58, v26
	v_fmac_f32_e32 v17, 0xbf737871, v20
	v_fmac_f32_e32 v19, 0x3f167918, v27
	v_add_f32_e32 v25, v25, v28
	v_fmac_f32_e32 v17, 0xbf167918, v27
	v_fmac_f32_e32 v19, 0x3e9e377a, v25
	;; [unrolled: 1-line block ×3, first 2 shown]
	v_add_f32_e32 v25, v29, v58
	v_fma_f32 v21, -0.5, v25, v21
	v_sub_f32_e32 v25, v69, v29
	v_sub_f32_e32 v28, v26, v58
	v_add_f32_e32 v28, v25, v28
	v_mov_b32_e32 v25, v21
	v_fmac_f32_e32 v25, 0xbf737871, v27
	v_fmac_f32_e32 v21, 0x3f737871, v27
	v_add_f32_e32 v27, v18, v58
	v_add_f32_e32 v18, v22, v30
	;; [unrolled: 1-line block ×3, first 2 shown]
	v_fmac_f32_e32 v25, 0x3f167918, v20
	v_fmac_f32_e32 v21, 0xbf167918, v20
	v_add_f32_e32 v18, v18, v57
	v_fmac_f32_e32 v25, 0x3e9e377a, v28
	v_fmac_f32_e32 v21, 0x3e9e377a, v28
	v_add_f32_e32 v28, v18, v61
	v_add_f32_e32 v18, v70, v57
	v_fma_f32 v18, -0.5, v18, v22
	v_sub_f32_e32 v29, v29, v58
	v_mov_b32_e32 v20, v18
	v_fmac_f32_e32 v20, 0xbf737871, v29
	v_sub_f32_e32 v58, v69, v26
	v_sub_f32_e32 v26, v30, v70
	;; [unrolled: 1-line block ×3, first 2 shown]
	v_fmac_f32_e32 v18, 0x3f737871, v29
	v_fmac_f32_e32 v20, 0xbf167918, v58
	v_add_f32_e32 v26, v26, v59
	v_fmac_f32_e32 v18, 0x3f167918, v58
	v_fmac_f32_e32 v20, 0x3e9e377a, v26
	;; [unrolled: 1-line block ×3, first 2 shown]
	v_add_f32_e32 v26, v30, v61
	v_fma_f32 v22, -0.5, v26, v22
	v_mov_b32_e32 v26, v22
	v_fmac_f32_e32 v26, 0x3f737871, v58
	v_fmac_f32_e32 v22, 0xbf737871, v58
	;; [unrolled: 1-line block ×3, first 2 shown]
	v_sub_f32_e32 v30, v70, v30
	v_sub_f32_e32 v57, v57, v61
	v_fmac_f32_e32 v22, 0x3f167918, v29
	v_add_f32_e32 v29, v23, v62
	v_add_f32_e32 v30, v30, v57
	;; [unrolled: 1-line block ×3, first 2 shown]
	v_mul_f32_e32 v76, v63, v3
	v_fmac_f32_e32 v26, 0x3e9e377a, v30
	v_fmac_f32_e32 v22, 0x3e9e377a, v30
	v_add_f32_e32 v30, v29, v74
	v_add_f32_e32 v29, v72, v74
	v_fmac_f32_e32 v76, v64, v2
	v_fma_f32 v29, -0.5, v29, v23
	v_sub_f32_e32 v57, v71, v76
	v_mov_b32_e32 v59, v29
	v_fmac_f32_e32 v59, 0x3f737871, v57
	v_sub_f32_e32 v58, v73, v75
	v_sub_f32_e32 v61, v62, v72
	;; [unrolled: 1-line block ×3, first 2 shown]
	v_fmac_f32_e32 v29, 0xbf737871, v57
	v_fmac_f32_e32 v59, 0x3f167918, v58
	v_add_f32_e32 v61, v61, v63
	v_fmac_f32_e32 v29, 0xbf167918, v58
	v_fmac_f32_e32 v59, 0x3e9e377a, v61
	;; [unrolled: 1-line block ×3, first 2 shown]
	v_add_f32_e32 v61, v62, v60
	v_fma_f32 v23, -0.5, v61, v23
	v_sub_f32_e32 v61, v72, v62
	v_sub_f32_e32 v63, v74, v60
	v_add_f32_e32 v64, v61, v63
	v_mov_b32_e32 v61, v23
	v_add_f32_e32 v63, v30, v60
	v_add_f32_e32 v30, v24, v71
	v_fmac_f32_e32 v61, 0xbf737871, v58
	v_fmac_f32_e32 v23, 0x3f737871, v58
	v_add_f32_e32 v30, v30, v73
	v_fmac_f32_e32 v61, 0x3f167918, v57
	v_fmac_f32_e32 v23, 0xbf167918, v57
	;; [unrolled: 3-line block ×3, first 2 shown]
	v_add_f32_e32 v64, v30, v76
	v_add_f32_e32 v30, v73, v75
	v_fma_f32 v30, -0.5, v30, v24
	v_sub_f32_e32 v57, v62, v60
	v_mov_b32_e32 v60, v30
	v_fmac_f32_e32 v60, 0xbf737871, v57
	v_sub_f32_e32 v58, v72, v74
	v_sub_f32_e32 v62, v71, v73
	;; [unrolled: 1-line block ×3, first 2 shown]
	v_fmac_f32_e32 v30, 0x3f737871, v57
	v_fmac_f32_e32 v60, 0xbf167918, v58
	v_add_f32_e32 v62, v62, v69
	v_fmac_f32_e32 v30, 0x3f167918, v58
	v_fmac_f32_e32 v60, 0x3e9e377a, v62
	;; [unrolled: 1-line block ×3, first 2 shown]
	v_add_f32_e32 v62, v71, v76
	v_fmac_f32_e32 v24, -0.5, v62
	v_mov_b32_e32 v62, v24
	v_fmac_f32_e32 v62, 0x3f737871, v58
	v_fmac_f32_e32 v24, 0xbf737871, v58
	;; [unrolled: 1-line block ×4, first 2 shown]
	v_lshl_add_u32 v57, v31, 3, v16
	ds_write2_b64 v57, v[27:28], v[19:20] offset1:10
	ds_write2_b64 v57, v[25:26], v[21:22] offset0:20 offset1:30
	ds_write_b64 v57, v[17:18] offset:320
	v_mul_u32_u24_e32 v17, 50, v67
	v_sub_f32_e32 v69, v73, v71
	v_sub_f32_e32 v70, v75, v76
	v_add_u32_sdwa v17, v17, v68 dst_sel:DWORD dst_unused:UNUSED_PAD src0_sel:DWORD src1_sel:BYTE_0
	v_add_f32_e32 v69, v69, v70
	v_lshl_add_u32 v58, v17, 3, v16
	v_fmac_f32_e32 v62, 0x3e9e377a, v69
	v_fmac_f32_e32 v24, 0x3e9e377a, v69
	ds_write2_b64 v58, v[63:64], v[59:60] offset1:10
	ds_write2_b64 v58, v[61:62], v[23:24] offset0:20 offset1:30
	ds_write_b64 v58, v[29:30] offset:320
	v_lshlrev_b32_e32 v59, 5, v56
	s_waitcnt lgkmcnt(0)
	s_barrier
	global_load_dwordx4 v[20:23], v59, s[10:11] offset:320
	v_lshlrev_b32_e32 v60, 5, v66
	global_load_dwordx4 v[24:27], v60, s[10:11] offset:320
	global_load_dwordx4 v[28:31], v59, s[10:11] offset:336
	;; [unrolled: 1-line block ×3, first 2 shown]
	ds_read2_b64 v[59:62], v55 offset0:50 offset1:75
	ds_read2_b64 v[63:66], v55 offset0:100 offset1:125
	;; [unrolled: 1-line block ×4, first 2 shown]
	s_waitcnt vmcnt(3) lgkmcnt(3)
	v_mul_f32_e32 v75, v60, v21
	v_fma_f32 v75, v59, v20, -v75
	v_mul_f32_e32 v76, v59, v21
	s_waitcnt vmcnt(2)
	v_mul_f32_e32 v59, v62, v25
	v_fma_f32 v77, v61, v24, -v59
	s_waitcnt lgkmcnt(2)
	v_mul_f32_e32 v59, v64, v23
	v_fma_f32 v79, v63, v22, -v59
	v_mul_f32_e32 v59, v66, v27
	v_fma_f32 v81, v65, v26, -v59
	s_waitcnt vmcnt(1) lgkmcnt(1)
	v_mul_f32_e32 v59, v68, v29
	v_fma_f32 v83, v67, v28, -v59
	s_waitcnt vmcnt(0)
	v_mul_f32_e32 v59, v70, v17
	v_fma_f32 v85, v69, v16, -v59
	s_waitcnt lgkmcnt(0)
	v_mul_f32_e32 v59, v72, v31
	v_mul_f32_e32 v78, v61, v25
	;; [unrolled: 1-line block ×4, first 2 shown]
	v_fma_f32 v67, v71, v30, -v59
	v_mul_f32_e32 v69, v71, v31
	v_mul_f32_e32 v59, v74, v19
	v_fmac_f32_e32 v76, v60, v20
	v_fmac_f32_e32 v78, v62, v24
	;; [unrolled: 1-line block ×3, first 2 shown]
	v_fma_f32 v72, v73, v18, -v59
	ds_read2_b64 v[59:62], v55 offset1:25
	v_mul_f32_e32 v80, v63, v23
	v_fmac_f32_e32 v80, v64, v22
	v_mul_f32_e32 v82, v65, v27
	v_fmac_f32_e32 v84, v68, v28
	v_sub_f32_e32 v64, v75, v79
	v_sub_f32_e32 v65, v67, v83
	v_add_f32_e32 v63, v79, v83
	v_add_f32_e32 v68, v64, v65
	;; [unrolled: 1-line block ×3, first 2 shown]
	v_fmac_f32_e32 v82, v66, v26
	v_mul_f32_e32 v87, v73, v19
	s_waitcnt lgkmcnt(0)
	v_fma_f32 v63, -0.5, v63, v59
	v_fma_f32 v64, -0.5, v64, v60
	v_sub_f32_e32 v65, v76, v80
	v_sub_f32_e32 v66, v69, v84
	v_fmac_f32_e32 v86, v70, v16
	v_fmac_f32_e32 v87, v74, v18
	v_add_f32_e32 v70, v65, v66
	v_sub_f32_e32 v71, v76, v69
	v_mov_b32_e32 v65, v63
	v_mov_b32_e32 v66, v64
	v_sub_f32_e32 v74, v75, v67
	v_fmac_f32_e32 v65, 0x3f737871, v71
	v_sub_f32_e32 v73, v80, v84
	v_fmac_f32_e32 v66, 0xbf737871, v74
	;; [unrolled: 2-line block ×3, first 2 shown]
	v_fmac_f32_e32 v66, 0xbf167918, v88
	v_fmac_f32_e32 v65, 0x3e9e377a, v68
	;; [unrolled: 1-line block ×3, first 2 shown]
	ds_write_b64 v55, v[65:66] offset:400
	v_fmac_f32_e32 v63, 0xbf737871, v71
	v_add_f32_e32 v65, v59, v75
	v_fmac_f32_e32 v63, 0xbf167918, v73
	v_add_f32_e32 v65, v65, v79
	;; [unrolled: 2-line block ×3, first 2 shown]
	v_sub_f32_e32 v65, v79, v75
	v_sub_f32_e32 v68, v83, v67
	v_add_f32_e32 v68, v65, v68
	v_add_f32_e32 v65, v75, v67
	v_fma_f32 v59, -0.5, v65, v59
	v_mov_b32_e32 v65, v59
	v_add_f32_e32 v67, v66, v67
	v_add_f32_e32 v66, v60, v76
	v_fmac_f32_e32 v65, 0xbf737871, v73
	v_fmac_f32_e32 v59, 0x3f737871, v73
	v_add_f32_e32 v66, v66, v80
	v_fmac_f32_e32 v65, 0x3f167918, v71
	v_fmac_f32_e32 v59, 0xbf167918, v71
	;; [unrolled: 3-line block ×3, first 2 shown]
	v_add_f32_e32 v68, v66, v69
	v_add_f32_e32 v66, v76, v69
	v_fma_f32 v60, -0.5, v66, v60
	v_sub_f32_e32 v66, v80, v76
	v_sub_f32_e32 v69, v84, v69
	v_add_f32_e32 v69, v66, v69
	v_mov_b32_e32 v66, v60
	v_fmac_f32_e32 v64, 0x3f737871, v74
	v_fmac_f32_e32 v66, 0x3f737871, v88
	;; [unrolled: 1-line block ×9, first 2 shown]
	v_sub_f32_e32 v69, v77, v81
	v_sub_f32_e32 v70, v72, v85
	v_add_f32_e32 v70, v69, v70
	v_add_f32_e32 v69, v81, v85
	v_fma_f32 v69, -0.5, v69, v61
	v_sub_f32_e32 v74, v78, v87
	v_mov_b32_e32 v71, v69
	v_fmac_f32_e32 v71, 0x3f737871, v74
	v_sub_f32_e32 v75, v82, v86
	v_fmac_f32_e32 v69, 0xbf737871, v74
	v_fmac_f32_e32 v71, 0x3f167918, v75
	;; [unrolled: 1-line block ×3, first 2 shown]
	v_add_f32_e32 v73, v77, v72
	v_fmac_f32_e32 v71, 0x3e9e377a, v70
	v_fmac_f32_e32 v69, 0x3e9e377a, v70
	v_add_f32_e32 v70, v61, v77
	v_fma_f32 v61, -0.5, v73, v61
	v_sub_f32_e32 v73, v81, v77
	v_sub_f32_e32 v76, v85, v72
	v_add_f32_e32 v76, v73, v76
	v_mov_b32_e32 v73, v61
	v_fmac_f32_e32 v73, 0xbf737871, v75
	v_fmac_f32_e32 v61, 0x3f737871, v75
	;; [unrolled: 1-line block ×4, first 2 shown]
	v_add_f32_e32 v70, v70, v81
	v_add_f32_e32 v74, v62, v78
	;; [unrolled: 1-line block ×7, first 2 shown]
	v_fmac_f32_e32 v73, 0x3e9e377a, v76
	v_fmac_f32_e32 v61, 0x3e9e377a, v76
	v_add_f32_e32 v76, v74, v87
	v_fma_f32 v70, -0.5, v70, v62
	v_sub_f32_e32 v77, v77, v72
	v_sub_f32_e32 v72, v78, v82
	;; [unrolled: 1-line block ×3, first 2 shown]
	v_add_f32_e32 v74, v72, v74
	v_mov_b32_e32 v72, v70
	v_sub_f32_e32 v79, v81, v85
	v_fmac_f32_e32 v72, 0xbf737871, v77
	v_fmac_f32_e32 v70, 0x3f737871, v77
	;; [unrolled: 1-line block ×6, first 2 shown]
	v_add_f32_e32 v74, v78, v87
	v_fmac_f32_e32 v62, -0.5, v74
	v_sub_f32_e32 v74, v82, v78
	v_sub_f32_e32 v78, v86, v87
	v_add_f32_e32 v78, v74, v78
	v_mov_b32_e32 v74, v62
	v_fmac_f32_e32 v74, 0x3f737871, v79
	v_fmac_f32_e32 v62, 0xbf737871, v79
	;; [unrolled: 1-line block ×6, first 2 shown]
	ds_write_b64 v55, v[65:66] offset:800
	ds_write_b64 v55, v[59:60] offset:1200
	;; [unrolled: 1-line block ×3, first 2 shown]
	ds_write2_b64 v55, v[67:68], v[75:76] offset1:25
	ds_write_b64 v55, v[71:72] offset:600
	ds_write_b64 v55, v[73:74] offset:1000
	;; [unrolled: 1-line block ×4, first 2 shown]
	s_waitcnt lgkmcnt(0)
	s_barrier
	global_load_dwordx2 v[63:64], v54, s[8:9] offset:2000
	global_load_dwordx2 v[67:68], v54, s[6:7] offset:200
	;; [unrolled: 1-line block ×10, first 2 shown]
	ds_read2_b64 v[59:62], v55 offset1:25
	s_waitcnt vmcnt(9) lgkmcnt(0)
	v_mul_f32_e32 v54, v60, v64
	v_mul_f32_e32 v86, v59, v64
	v_fma_f32 v85, v59, v63, -v54
	v_fmac_f32_e32 v86, v60, v63
	ds_read2_b64 v[63:66], v55 offset0:50 offset1:75
	s_waitcnt vmcnt(8)
	v_mul_f32_e32 v54, v62, v68
	v_mul_f32_e32 v88, v61, v68
	v_fma_f32 v87, v61, v67, -v54
	v_fmac_f32_e32 v88, v62, v67
	ds_read2_b64 v[59:62], v55 offset0:100 offset1:125
	s_waitcnt vmcnt(7) lgkmcnt(1)
	v_mul_f32_e32 v54, v64, v70
	v_fma_f32 v67, v63, v69, -v54
	v_mul_f32_e32 v68, v63, v70
	s_waitcnt vmcnt(6)
	v_mul_f32_e32 v54, v66, v72
	v_mul_f32_e32 v70, v65, v72
	v_fmac_f32_e32 v68, v64, v69
	v_fma_f32 v69, v65, v71, -v54
	v_fmac_f32_e32 v70, v66, v71
	s_waitcnt vmcnt(5) lgkmcnt(0)
	v_mul_f32_e32 v54, v60, v74
	v_mul_f32_e32 v72, v59, v74
	ds_read2_b64 v[63:66], v55 offset0:150 offset1:175
	v_fma_f32 v71, v59, v73, -v54
	v_fmac_f32_e32 v72, v60, v73
	s_waitcnt vmcnt(4)
	v_mul_f32_e32 v54, v62, v76
	v_mul_f32_e32 v60, v61, v76
	v_fma_f32 v59, v61, v75, -v54
	v_fmac_f32_e32 v60, v62, v75
	ds_write2_b64 v55, v[85:86], v[87:88] offset1:25
	ds_write2_b64 v55, v[67:68], v[69:70] offset0:50 offset1:75
	ds_write2_b64 v55, v[71:72], v[59:60] offset0:100 offset1:125
	ds_read2_b64 v[59:62], v55 offset0:200 offset1:225
	s_waitcnt vmcnt(3) lgkmcnt(4)
	v_mul_f32_e32 v54, v64, v78
	v_mul_f32_e32 v68, v63, v78
	v_fma_f32 v67, v63, v77, -v54
	v_fmac_f32_e32 v68, v64, v77
	s_waitcnt vmcnt(2)
	v_mul_f32_e32 v54, v66, v80
	v_mul_f32_e32 v64, v65, v80
	v_fma_f32 v63, v65, v79, -v54
	v_fmac_f32_e32 v64, v66, v79
	ds_write2_b64 v55, v[67:68], v[63:64] offset0:150 offset1:175
	s_waitcnt vmcnt(1) lgkmcnt(1)
	v_mul_f32_e32 v54, v60, v82
	v_mul_f32_e32 v64, v59, v82
	v_fma_f32 v63, v59, v81, -v54
	v_fmac_f32_e32 v64, v60, v81
	s_waitcnt vmcnt(0)
	v_mul_f32_e32 v54, v62, v84
	v_mul_f32_e32 v60, v61, v84
	v_fma_f32 v59, v61, v83, -v54
	v_fmac_f32_e32 v60, v62, v83
	ds_write2_b64 v55, v[63:64], v[59:60] offset0:200 offset1:225
	s_waitcnt lgkmcnt(0)
	s_barrier
	ds_read2_b64 v[59:62], v55 offset1:25
	ds_read2_b64 v[63:66], v55 offset0:50 offset1:75
	ds_read2_b64 v[67:70], v55 offset0:100 offset1:125
	;; [unrolled: 1-line block ×3, first 2 shown]
	s_waitcnt lgkmcnt(2)
	v_add_f32_e32 v75, v60, v64
	s_waitcnt lgkmcnt(1)
	v_add_f32_e32 v80, v75, v68
	v_add_f32_e32 v75, v61, v65
	;; [unrolled: 1-line block ×5, first 2 shown]
	ds_read2_b64 v[75:78], v55 offset0:200 offset1:225
	v_add_f32_e32 v54, v59, v63
	s_waitcnt lgkmcnt(1)
	v_sub_f32_e32 v83, v68, v72
	v_sub_f32_e32 v84, v63, v67
	;; [unrolled: 1-line block ×3, first 2 shown]
	v_add_f32_e32 v86, v68, v72
	v_sub_f32_e32 v88, v64, v68
	v_sub_f32_e32 v68, v68, v64
	;; [unrolled: 1-line block ×3, first 2 shown]
	v_add_f32_e32 v92, v70, v74
	v_sub_f32_e32 v93, v66, v70
	v_sub_f32_e32 v70, v70, v66
	s_waitcnt lgkmcnt(0)
	v_sub_f32_e32 v94, v64, v76
	v_add_f32_e32 v95, v63, v75
	v_sub_f32_e32 v96, v63, v75
	v_add_f32_e32 v63, v64, v76
	;; [unrolled: 2-line block ×3, first 2 shown]
	v_add_f32_e32 v80, v80, v72
	v_add_f32_e32 v54, v54, v67
	;; [unrolled: 1-line block ×3, first 2 shown]
	v_sub_f32_e32 v87, v67, v71
	v_add_f32_e32 v67, v69, v73
	v_sub_f32_e32 v90, v65, v69
	v_sub_f32_e32 v91, v69, v65
	;; [unrolled: 1-line block ×5, first 2 shown]
	v_add_f32_e32 v76, v80, v76
	v_fma_f32 v80, -0.5, v92, v62
	v_fmac_f32_e32 v62, -0.5, v66
	v_add_f32_e32 v97, v65, v77
	v_sub_f32_e32 v65, v65, v77
	v_add_f32_e32 v82, v82, v74
	v_sub_f32_e32 v101, v78, v74
	v_sub_f32_e32 v74, v74, v78
	v_mov_b32_e32 v92, v62
	v_fmac_f32_e32 v62, 0x3f737871, v69
	v_add_f32_e32 v66, v70, v74
	v_fmac_f32_e32 v62, 0xbf167918, v65
	v_add_f32_e32 v54, v54, v71
	v_add_f32_e32 v81, v81, v73
	v_fma_f32 v70, -0.5, v79, v59
	v_fmac_f32_e32 v62, 0x3e9e377a, v66
	v_sub_f32_e32 v98, v75, v71
	v_sub_f32_e32 v71, v71, v75
	v_add_f32_e32 v54, v54, v75
	v_add_f32_e32 v75, v81, v77
	v_fma_f32 v74, -0.5, v95, v59
	v_fma_f32 v79, -0.5, v86, v60
	;; [unrolled: 1-line block ×3, first 2 shown]
	v_mul_f32_e32 v60, 0xbf737871, v62
	v_mul_f32_e32 v95, 0xbe9e377a, v62
	v_mov_b32_e32 v62, v70
	v_add_f32_e32 v78, v82, v78
	v_fma_f32 v82, -0.5, v67, v61
	v_fma_f32 v86, -0.5, v97, v61
	v_fmac_f32_e32 v62, 0xbf737871, v94
	v_fmac_f32_e32 v70, 0x3f737871, v94
	v_mov_b32_e32 v67, v74
	v_add_f32_e32 v59, v84, v98
	v_fmac_f32_e32 v62, 0xbf167918, v83
	v_fmac_f32_e32 v70, 0x3f167918, v83
	;; [unrolled: 1-line block ×4, first 2 shown]
	v_mov_b32_e32 v83, v82
	v_mov_b32_e32 v84, v86
	v_sub_f32_e32 v100, v77, v73
	v_fmac_f32_e32 v62, 0x3e9e377a, v59
	v_fmac_f32_e32 v70, 0x3e9e377a, v59
	v_add_f32_e32 v59, v85, v71
	v_fmac_f32_e32 v67, 0xbf167918, v94
	v_fmac_f32_e32 v74, 0x3f167918, v94
	;; [unrolled: 1-line block ×6, first 2 shown]
	v_sub_f32_e32 v73, v73, v77
	v_fmac_f32_e32 v67, 0x3e9e377a, v59
	v_fmac_f32_e32 v74, 0x3e9e377a, v59
	v_add_f32_e32 v59, v90, v100
	v_fmac_f32_e32 v83, 0xbf167918, v89
	v_fmac_f32_e32 v82, 0x3f167918, v89
	;; [unrolled: 1-line block ×4, first 2 shown]
	v_mov_b32_e32 v64, v80
	v_fmac_f32_e32 v92, 0xbf737871, v69
	v_fmac_f32_e32 v83, 0x3e9e377a, v59
	;; [unrolled: 1-line block ×3, first 2 shown]
	v_add_f32_e32 v59, v91, v73
	v_fmac_f32_e32 v64, 0x3f737871, v65
	v_fmac_f32_e32 v92, 0x3f167918, v65
	;; [unrolled: 1-line block ×4, first 2 shown]
	v_add_f32_e32 v59, v93, v101
	v_fmac_f32_e32 v64, 0x3f167918, v69
	v_fmac_f32_e32 v92, 0x3e9e377a, v66
	v_fmac_f32_e32 v64, 0x3e9e377a, v59
	v_fmac_f32_e32 v80, 0xbf737871, v65
	v_mul_f32_e32 v66, 0xbf737871, v92
	v_fmac_f32_e32 v80, 0xbf167918, v69
	v_mul_f32_e32 v63, 0xbf167918, v64
	v_fmac_f32_e32 v66, 0x3e9e377a, v84
	v_fmac_f32_e32 v80, 0x3e9e377a, v59
	;; [unrolled: 1-line block ×3, first 2 shown]
	v_sub_f32_e32 v65, v67, v66
	v_add_f32_e32 v67, v67, v66
	v_mul_f32_e32 v66, 0x3f167918, v83
	v_add_f32_e32 v61, v62, v63
	v_sub_f32_e32 v63, v62, v63
	v_mul_f32_e32 v62, 0xbf167918, v80
	v_fmac_f32_e32 v66, 0x3f4f1bbd, v64
	v_mov_b32_e32 v64, v79
	v_fmac_f32_e32 v62, 0xbf4f1bbd, v82
	v_fmac_f32_e32 v64, 0x3f737871, v96
	v_add_f32_e32 v59, v54, v75
	v_sub_f32_e32 v73, v54, v75
	v_add_f32_e32 v71, v70, v62
	v_sub_f32_e32 v77, v70, v62
	v_add_f32_e32 v54, v88, v99
	v_fmac_f32_e32 v64, 0x3f167918, v87
	v_add_f32_e32 v70, v68, v72
	v_mov_b32_e32 v72, v81
	v_fmac_f32_e32 v79, 0xbf737871, v96
	v_fmac_f32_e32 v64, 0x3e9e377a, v54
	v_fmac_f32_e32 v72, 0xbf737871, v87
	v_fmac_f32_e32 v81, 0x3f737871, v87
	v_fmac_f32_e32 v79, 0xbf167918, v87
	v_fmac_f32_e32 v60, 0xbe9e377a, v86
	v_add_f32_e32 v62, v64, v66
	v_sub_f32_e32 v64, v64, v66
	v_mul_f32_e32 v66, 0x3e9e377a, v92
	v_fmac_f32_e32 v72, 0x3f167918, v96
	v_fmac_f32_e32 v81, 0xbf167918, v96
	;; [unrolled: 1-line block ×3, first 2 shown]
	v_mul_f32_e32 v54, 0xbf4f1bbd, v80
	v_add_f32_e32 v69, v74, v60
	v_sub_f32_e32 v75, v74, v60
	v_add_f32_e32 v60, v76, v78
	v_fmac_f32_e32 v66, 0x3f737871, v84
	v_fmac_f32_e32 v72, 0x3e9e377a, v70
	;; [unrolled: 1-line block ×5, first 2 shown]
	v_sub_f32_e32 v74, v76, v78
	v_add_f32_e32 v68, v72, v66
	v_sub_f32_e32 v66, v72, v66
	v_add_f32_e32 v70, v81, v95
	;; [unrolled: 2-line block ×3, first 2 shown]
	v_sub_f32_e32 v78, v79, v54
	s_barrier
	ds_write_b128 v53, v[59:62]
	ds_write_b128 v53, v[67:70] offset:16
	ds_write_b128 v53, v[71:74] offset:32
	;; [unrolled: 1-line block ×4, first 2 shown]
	s_waitcnt lgkmcnt(0)
	s_barrier
	ds_read2_b64 v[59:62], v55 offset0:50 offset1:75
	ds_read2_b64 v[63:66], v55 offset0:100 offset1:125
	;; [unrolled: 1-line block ×4, first 2 shown]
	v_mad_u64_u32 v[53:54], s[6:7], s2, v36, 0
	s_load_dwordx2 s[6:7], s[4:5], 0x38
	s_waitcnt lgkmcnt(0)
	v_mul_f32_e32 v75, v9, v60
	v_mul_f32_e32 v9, v9, v59
	v_fmac_f32_e32 v75, v8, v59
	v_fma_f32 v59, v8, v60, -v9
	v_mul_f32_e32 v60, v11, v64
	v_mul_f32_e32 v8, v11, v63
	;; [unrolled: 1-line block ×4, first 2 shown]
	v_fmac_f32_e32 v60, v10, v63
	v_fma_f32 v63, v10, v64, -v8
	v_fmac_f32_e32 v11, v4, v67
	v_fma_f32 v64, v4, v68, -v5
	v_mul_f32_e32 v4, v7, v71
	v_mul_f32_e32 v9, v7, v72
	v_fma_f32 v67, v6, v72, -v4
	v_mul_f32_e32 v4, v13, v61
	v_fmac_f32_e32 v9, v6, v71
	v_fma_f32 v71, v12, v62, -v4
	ds_read2_b64 v[4:7], v55 offset1:25
	v_mul_f32_e32 v68, v13, v62
	v_mul_f32_e32 v62, v15, v66
	;; [unrolled: 1-line block ×3, first 2 shown]
	v_fmac_f32_e32 v62, v14, v65
	v_fma_f32 v65, v14, v66, -v8
	v_mul_f32_e32 v66, v1, v70
	v_mul_f32_e32 v1, v1, v69
	v_fmac_f32_e32 v66, v0, v69
	v_fma_f32 v69, v0, v70, -v1
	v_mul_f32_e32 v70, v3, v74
	v_mul_f32_e32 v0, v3, v73
	v_add_f32_e32 v1, v60, v11
	v_fmac_f32_e32 v70, v2, v73
	v_fma_f32 v72, v2, v74, -v0
	s_waitcnt lgkmcnt(0)
	v_fma_f32 v2, -0.5, v1, v4
	v_sub_f32_e32 v1, v59, v67
	v_mov_b32_e32 v8, v2
	v_fmac_f32_e32 v68, v12, v61
	v_fmac_f32_e32 v8, 0xbf737871, v1
	v_sub_f32_e32 v3, v63, v64
	v_sub_f32_e32 v10, v75, v60
	v_sub_f32_e32 v12, v9, v11
	v_fmac_f32_e32 v2, 0x3f737871, v1
	v_fmac_f32_e32 v8, 0xbf167918, v3
	v_add_f32_e32 v10, v10, v12
	v_fmac_f32_e32 v2, 0x3f167918, v3
	v_fmac_f32_e32 v8, 0x3e9e377a, v10
	;; [unrolled: 1-line block ×3, first 2 shown]
	v_add_f32_e32 v10, v75, v9
	v_add_f32_e32 v0, v4, v75
	v_fma_f32 v4, -0.5, v10, v4
	v_mov_b32_e32 v10, v4
	v_add_f32_e32 v0, v0, v60
	v_fmac_f32_e32 v10, 0x3f737871, v3
	v_sub_f32_e32 v12, v60, v75
	v_sub_f32_e32 v13, v11, v9
	v_fmac_f32_e32 v4, 0xbf737871, v3
	v_add_f32_e32 v3, v63, v64
	v_add_f32_e32 v0, v0, v11
	v_fmac_f32_e32 v10, 0xbf167918, v1
	v_add_f32_e32 v12, v12, v13
	v_fmac_f32_e32 v4, 0x3f167918, v1
	v_fma_f32 v3, -0.5, v3, v5
	v_add_f32_e32 v0, v0, v9
	v_fmac_f32_e32 v10, 0x3e9e377a, v12
	v_fmac_f32_e32 v4, 0x3e9e377a, v12
	v_sub_f32_e32 v12, v75, v9
	v_mov_b32_e32 v9, v3
	v_fmac_f32_e32 v9, 0x3f737871, v12
	v_sub_f32_e32 v13, v60, v11
	v_sub_f32_e32 v11, v59, v63
	;; [unrolled: 1-line block ×3, first 2 shown]
	v_fmac_f32_e32 v3, 0xbf737871, v12
	v_fmac_f32_e32 v9, 0x3f167918, v13
	v_add_f32_e32 v11, v11, v14
	v_fmac_f32_e32 v3, 0xbf167918, v13
	v_fmac_f32_e32 v9, 0x3e9e377a, v11
	;; [unrolled: 1-line block ×3, first 2 shown]
	v_add_f32_e32 v11, v59, v67
	v_add_f32_e32 v1, v5, v59
	v_fma_f32 v5, -0.5, v11, v5
	v_mov_b32_e32 v11, v5
	v_fmac_f32_e32 v11, 0xbf737871, v13
	v_sub_f32_e32 v14, v63, v59
	v_sub_f32_e32 v15, v64, v67
	v_fmac_f32_e32 v5, 0x3f737871, v13
	v_fmac_f32_e32 v11, 0x3f167918, v12
	v_add_f32_e32 v14, v14, v15
	v_fmac_f32_e32 v5, 0xbf167918, v12
	v_add_f32_e32 v13, v62, v66
	v_fmac_f32_e32 v11, 0x3e9e377a, v14
	v_fmac_f32_e32 v5, 0x3e9e377a, v14
	v_fma_f32 v14, -0.5, v13, v6
	v_sub_f32_e32 v13, v71, v72
	v_mov_b32_e32 v59, v14
	v_fmac_f32_e32 v59, 0xbf737871, v13
	v_sub_f32_e32 v15, v65, v69
	v_sub_f32_e32 v60, v68, v62
	;; [unrolled: 1-line block ×3, first 2 shown]
	v_fmac_f32_e32 v14, 0x3f737871, v13
	v_fmac_f32_e32 v59, 0xbf167918, v15
	v_add_f32_e32 v60, v60, v61
	v_fmac_f32_e32 v14, 0x3f167918, v15
	v_fmac_f32_e32 v59, 0x3e9e377a, v60
	;; [unrolled: 1-line block ×3, first 2 shown]
	v_add_f32_e32 v60, v68, v70
	v_add_f32_e32 v12, v6, v68
	v_fma_f32 v6, -0.5, v60, v6
	v_mov_b32_e32 v61, v6
	v_add_f32_e32 v1, v1, v63
	v_fmac_f32_e32 v61, 0x3f737871, v15
	v_sub_f32_e32 v60, v62, v68
	v_sub_f32_e32 v63, v66, v70
	v_fmac_f32_e32 v6, 0xbf737871, v15
	v_add_f32_e32 v15, v65, v69
	v_fmac_f32_e32 v61, 0xbf167918, v13
	v_add_f32_e32 v60, v60, v63
	v_fmac_f32_e32 v6, 0x3f167918, v13
	v_fma_f32 v15, -0.5, v15, v7
	v_add_f32_e32 v12, v12, v62
	v_fmac_f32_e32 v61, 0x3e9e377a, v60
	v_fmac_f32_e32 v6, 0x3e9e377a, v60
	v_sub_f32_e32 v63, v68, v70
	v_mov_b32_e32 v60, v15
	v_add_f32_e32 v1, v1, v64
	v_add_f32_e32 v12, v12, v66
	v_fmac_f32_e32 v60, 0x3f737871, v63
	v_sub_f32_e32 v64, v62, v66
	v_sub_f32_e32 v62, v71, v65
	;; [unrolled: 1-line block ×3, first 2 shown]
	v_fmac_f32_e32 v15, 0xbf737871, v63
	v_fmac_f32_e32 v60, 0x3f167918, v64
	v_add_f32_e32 v62, v62, v66
	v_fmac_f32_e32 v15, 0xbf167918, v64
	v_fmac_f32_e32 v60, 0x3e9e377a, v62
	;; [unrolled: 1-line block ×3, first 2 shown]
	v_add_f32_e32 v62, v71, v72
	v_add_f32_e32 v13, v7, v71
	v_fmac_f32_e32 v7, -0.5, v62
	v_add_f32_e32 v13, v13, v65
	v_mov_b32_e32 v62, v7
	v_sub_f32_e32 v65, v65, v71
	v_sub_f32_e32 v66, v69, v72
	v_fmac_f32_e32 v7, 0x3f737871, v64
	v_add_f32_e32 v13, v13, v69
	v_fmac_f32_e32 v62, 0xbf737871, v64
	v_add_f32_e32 v65, v65, v66
	;; [unrolled: 2-line block ×3, first 2 shown]
	v_add_f32_e32 v12, v12, v70
	v_add_f32_e32 v13, v13, v72
	v_fmac_f32_e32 v62, 0x3f167918, v63
	v_fmac_f32_e32 v7, 0x3e9e377a, v65
	;; [unrolled: 1-line block ×3, first 2 shown]
	s_barrier
	ds_write2_b64 v57, v[0:1], v[8:9] offset1:10
	ds_write2_b64 v57, v[10:11], v[4:5] offset0:20 offset1:30
	ds_write_b64 v57, v[2:3] offset:320
	ds_write2_b64 v58, v[12:13], v[59:60] offset1:10
	ds_write2_b64 v58, v[61:62], v[6:7] offset0:20 offset1:30
	ds_write_b64 v58, v[14:15] offset:320
	s_waitcnt lgkmcnt(0)
	s_barrier
	ds_read2_b64 v[0:3], v55 offset0:50 offset1:75
	ds_read2_b64 v[4:7], v55 offset1:25
	ds_read2_b64 v[8:11], v55 offset0:100 offset1:125
	ds_read2_b64 v[12:15], v55 offset0:150 offset1:175
	;; [unrolled: 1-line block ×3, first 2 shown]
	s_waitcnt lgkmcnt(4)
	v_mul_f32_e32 v61, v21, v1
	v_fmac_f32_e32 v61, v20, v0
	v_mul_f32_e32 v0, v21, v0
	v_fma_f32 v20, v20, v1, -v0
	s_waitcnt lgkmcnt(2)
	v_mul_f32_e32 v21, v23, v9
	v_mul_f32_e32 v0, v23, v8
	s_waitcnt lgkmcnt(1)
	v_mul_f32_e32 v23, v29, v13
	v_fmac_f32_e32 v21, v22, v8
	v_fma_f32 v22, v22, v9, -v0
	v_fmac_f32_e32 v23, v28, v12
	v_mul_f32_e32 v0, v29, v12
	v_fma_f32 v12, v28, v13, -v0
	s_waitcnt lgkmcnt(0)
	v_mul_f32_e32 v0, v31, v57
	v_mul_f32_e32 v28, v25, v3
	v_add_f32_e32 v1, v21, v23
	v_mul_f32_e32 v9, v31, v58
	v_fma_f32 v13, v30, v58, -v0
	v_fmac_f32_e32 v28, v24, v2
	v_mul_f32_e32 v0, v25, v2
	v_fma_f32 v2, -0.5, v1, v4
	v_fmac_f32_e32 v9, v30, v57
	v_fma_f32 v24, v24, v3, -v0
	v_mul_f32_e32 v25, v27, v11
	v_mul_f32_e32 v0, v27, v10
	v_sub_f32_e32 v1, v20, v13
	v_mov_b32_e32 v8, v2
	v_fmac_f32_e32 v25, v26, v10
	v_fma_f32 v26, v26, v11, -v0
	v_fmac_f32_e32 v8, 0xbf737871, v1
	v_sub_f32_e32 v3, v22, v12
	v_sub_f32_e32 v10, v61, v21
	;; [unrolled: 1-line block ×3, first 2 shown]
	v_fmac_f32_e32 v2, 0x3f737871, v1
	v_mul_f32_e32 v0, v17, v14
	v_fmac_f32_e32 v8, 0xbf167918, v3
	v_add_f32_e32 v10, v10, v11
	v_fmac_f32_e32 v2, 0x3f167918, v3
	v_fma_f32 v29, v16, v15, -v0
	v_mul_f32_e32 v0, v19, v59
	v_fmac_f32_e32 v8, 0x3e9e377a, v10
	v_fmac_f32_e32 v2, 0x3e9e377a, v10
	v_add_f32_e32 v10, v61, v9
	v_fma_f32 v30, v18, v60, -v0
	v_add_f32_e32 v0, v4, v61
	v_fma_f32 v4, -0.5, v10, v4
	v_mov_b32_e32 v10, v4
	v_mul_f32_e32 v27, v17, v15
	v_add_f32_e32 v0, v0, v21
	v_fmac_f32_e32 v10, 0x3f737871, v3
	v_fmac_f32_e32 v4, 0xbf737871, v3
	v_add_f32_e32 v3, v22, v12
	v_fmac_f32_e32 v27, v16, v14
	v_add_f32_e32 v0, v0, v23
	v_sub_f32_e32 v11, v21, v61
	v_sub_f32_e32 v14, v23, v9
	v_fma_f32 v3, -0.5, v3, v5
	v_add_f32_e32 v0, v0, v9
	v_fmac_f32_e32 v10, 0xbf167918, v1
	v_add_f32_e32 v11, v11, v14
	v_fmac_f32_e32 v4, 0x3f167918, v1
	v_sub_f32_e32 v14, v61, v9
	v_mov_b32_e32 v9, v3
	v_fmac_f32_e32 v10, 0x3e9e377a, v11
	v_fmac_f32_e32 v4, 0x3e9e377a, v11
	;; [unrolled: 1-line block ×3, first 2 shown]
	v_sub_f32_e32 v15, v21, v23
	v_sub_f32_e32 v11, v20, v22
	;; [unrolled: 1-line block ×3, first 2 shown]
	v_fmac_f32_e32 v3, 0xbf737871, v14
	v_fmac_f32_e32 v9, 0x3f167918, v15
	v_add_f32_e32 v11, v11, v16
	v_fmac_f32_e32 v3, 0xbf167918, v15
	v_add_f32_e32 v1, v5, v20
	v_fmac_f32_e32 v9, 0x3e9e377a, v11
	v_fmac_f32_e32 v3, 0x3e9e377a, v11
	v_add_f32_e32 v11, v20, v13
	v_add_f32_e32 v1, v1, v22
	v_fma_f32 v5, -0.5, v11, v5
	v_add_f32_e32 v1, v1, v12
	v_mov_b32_e32 v11, v5
	v_add_f32_e32 v1, v1, v13
	v_fmac_f32_e32 v11, 0xbf737871, v15
	v_sub_f32_e32 v12, v12, v13
	v_fmac_f32_e32 v5, 0x3f737871, v15
	v_add_f32_e32 v13, v25, v27
	v_mul_f32_e32 v17, v19, v60
	v_fmac_f32_e32 v11, 0x3f167918, v14
	v_sub_f32_e32 v16, v22, v20
	v_fmac_f32_e32 v5, 0xbf167918, v14
	v_fma_f32 v14, -0.5, v13, v6
	v_fmac_f32_e32 v17, v18, v59
	v_add_f32_e32 v12, v16, v12
	v_sub_f32_e32 v13, v24, v30
	v_mov_b32_e32 v16, v14
	v_fmac_f32_e32 v16, 0xbf737871, v13
	v_sub_f32_e32 v15, v26, v29
	v_sub_f32_e32 v18, v28, v25
	;; [unrolled: 1-line block ×3, first 2 shown]
	v_fmac_f32_e32 v14, 0x3f737871, v13
	v_fmac_f32_e32 v16, 0xbf167918, v15
	v_add_f32_e32 v18, v18, v19
	v_fmac_f32_e32 v14, 0x3f167918, v15
	v_fmac_f32_e32 v16, 0x3e9e377a, v18
	;; [unrolled: 1-line block ×3, first 2 shown]
	v_add_f32_e32 v18, v28, v17
	v_fmac_f32_e32 v11, 0x3e9e377a, v12
	v_fmac_f32_e32 v5, 0x3e9e377a, v12
	v_add_f32_e32 v12, v6, v28
	v_fma_f32 v6, -0.5, v18, v6
	v_mov_b32_e32 v18, v6
	v_add_f32_e32 v12, v12, v25
	v_fmac_f32_e32 v18, 0x3f737871, v15
	v_fmac_f32_e32 v6, 0xbf737871, v15
	v_add_f32_e32 v15, v26, v29
	v_add_f32_e32 v12, v12, v27
	v_sub_f32_e32 v19, v25, v28
	v_sub_f32_e32 v20, v27, v17
	v_fma_f32 v15, -0.5, v15, v7
	v_add_f32_e32 v12, v12, v17
	v_fmac_f32_e32 v18, 0xbf167918, v13
	v_add_f32_e32 v19, v19, v20
	v_fmac_f32_e32 v6, 0x3f167918, v13
	v_sub_f32_e32 v20, v28, v17
	v_mov_b32_e32 v17, v15
	v_fmac_f32_e32 v18, 0x3e9e377a, v19
	v_fmac_f32_e32 v6, 0x3e9e377a, v19
	;; [unrolled: 1-line block ×3, first 2 shown]
	v_sub_f32_e32 v21, v25, v27
	v_sub_f32_e32 v19, v24, v26
	;; [unrolled: 1-line block ×3, first 2 shown]
	v_fmac_f32_e32 v15, 0xbf737871, v20
	v_fmac_f32_e32 v17, 0x3f167918, v21
	v_add_f32_e32 v19, v19, v22
	v_fmac_f32_e32 v15, 0xbf167918, v21
	v_fmac_f32_e32 v17, 0x3e9e377a, v19
	;; [unrolled: 1-line block ×3, first 2 shown]
	v_add_f32_e32 v19, v24, v30
	v_add_f32_e32 v13, v7, v24
	v_fmac_f32_e32 v7, -0.5, v19
	v_add_f32_e32 v13, v13, v26
	v_mov_b32_e32 v19, v7
	v_add_f32_e32 v13, v13, v29
	v_fmac_f32_e32 v19, 0xbf737871, v21
	v_sub_f32_e32 v22, v26, v24
	v_sub_f32_e32 v23, v29, v30
	v_fmac_f32_e32 v7, 0x3f737871, v21
	v_add_f32_e32 v13, v13, v30
	v_fmac_f32_e32 v19, 0x3f167918, v20
	v_add_f32_e32 v22, v22, v23
	v_fmac_f32_e32 v7, 0xbf167918, v20
	v_fmac_f32_e32 v19, 0x3e9e377a, v22
	;; [unrolled: 1-line block ×3, first 2 shown]
	ds_write2_b64 v55, v[0:1], v[12:13] offset1:25
	ds_write2_b64 v55, v[8:9], v[16:17] offset0:50 offset1:75
	ds_write2_b64 v55, v[10:11], v[18:19] offset0:100 offset1:125
	;; [unrolled: 1-line block ×4, first 2 shown]
	s_waitcnt lgkmcnt(0)
	s_barrier
	ds_read2_b64 v[0:3], v55 offset1:25
	s_mov_b32 s4, 0xd2f1a9fc
	s_mov_b32 s5, 0x3f70624d
	v_mad_u64_u32 v[7:8], s[8:9], s0, v56, 0
	s_waitcnt lgkmcnt(0)
	v_mul_f32_e32 v5, v52, v1
	v_fmac_f32_e32 v5, v51, v0
	v_cvt_f64_f32_e32 v[5:6], v5
	v_mul_f32_e32 v0, v52, v0
	v_fma_f32 v0, v51, v1, -v0
	v_cvt_f64_f32_e32 v[0:1], v0
	v_mul_f64 v[5:6], v[5:6], s[4:5]
	v_mov_b32_e32 v4, v54
	v_mul_f64 v[0:1], v[0:1], s[4:5]
	v_mad_u64_u32 v[9:10], s[2:3], s3, v36, v[4:5]
	v_mov_b32_e32 v4, v8
	v_mad_u64_u32 v[10:11], s[2:3], s1, v56, v[4:5]
	v_mov_b32_e32 v54, v9
	v_mul_f32_e32 v9, v50, v3
	v_fmac_f32_e32 v9, v49, v2
	v_mov_b32_e32 v8, v10
	v_cvt_f64_f32_e32 v[9:10], v9
	v_cvt_f32_f64_e32 v4, v[5:6]
	v_cvt_f32_f64_e32 v5, v[0:1]
	v_lshlrev_b64 v[0:1], 3, v[53:54]
	v_mul_f32_e32 v2, v50, v2
	v_fma_f32 v2, v49, v3, -v2
	v_mov_b32_e32 v6, s7
	v_cvt_f64_f32_e32 v[2:3], v2
	v_add_co_u32_e32 v11, vcc, s6, v0
	v_addc_co_u32_e32 v12, vcc, v6, v1, vcc
	v_lshlrev_b64 v[0:1], 3, v[7:8]
	v_mul_f64 v[6:7], v[9:10], s[4:5]
	v_add_co_u32_e32 v10, vcc, v11, v0
	v_mul_f64 v[8:9], v[2:3], s[4:5]
	v_addc_co_u32_e32 v11, vcc, v12, v1, vcc
	ds_read2_b64 v[0:3], v55 offset0:50 offset1:75
	global_store_dwordx2 v[10:11], v[4:5], off
	v_cvt_f32_f64_e32 v4, v[6:7]
	s_mulk_i32 s1, 0xc8
	s_mul_hi_u32 s2, s0, 0xc8
	s_waitcnt lgkmcnt(0)
	v_mul_f32_e32 v6, v48, v1
	v_fmac_f32_e32 v6, v47, v0
	v_mul_f32_e32 v0, v48, v0
	v_fma_f32 v0, v47, v1, -v0
	v_cvt_f64_f32_e32 v[6:7], v6
	v_cvt_f64_f32_e32 v[0:1], v0
	v_cvt_f32_f64_e32 v5, v[8:9]
	s_add_i32 s1, s2, s1
	s_mulk_i32 s0, 0xc8
	v_mov_b32_e32 v9, s1
	v_add_co_u32_e32 v8, vcc, s0, v10
	v_mul_f64 v[6:7], v[6:7], s[4:5]
	v_addc_co_u32_e32 v9, vcc, v11, v9, vcc
	v_mul_f64 v[0:1], v[0:1], s[4:5]
	global_store_dwordx2 v[8:9], v[4:5], off
	v_mul_f32_e32 v5, v44, v3
	v_fmac_f32_e32 v5, v43, v2
	v_mul_f32_e32 v2, v44, v2
	v_fma_f32 v2, v43, v3, -v2
	v_cvt_f64_f32_e32 v[2:3], v2
	v_cvt_f32_f64_e32 v4, v[6:7]
	v_cvt_f64_f32_e32 v[6:7], v5
	v_cvt_f32_f64_e32 v5, v[0:1]
	v_mul_f64 v[10:11], v[2:3], s[4:5]
	ds_read2_b64 v[0:3], v55 offset0:100 offset1:125
	v_mov_b32_e32 v12, s1
	v_add_co_u32_e32 v8, vcc, s0, v8
	v_addc_co_u32_e32 v9, vcc, v9, v12, vcc
	global_store_dwordx2 v[8:9], v[4:5], off
	s_waitcnt lgkmcnt(0)
	v_mul_f32_e32 v4, v46, v1
	v_fmac_f32_e32 v4, v45, v0
	v_cvt_f64_f32_e32 v[4:5], v4
	v_mul_f32_e32 v0, v46, v0
	v_fma_f32 v0, v45, v1, -v0
	v_mul_f64 v[6:7], v[6:7], s[4:5]
	v_mul_f64 v[4:5], v[4:5], s[4:5]
	v_cvt_f64_f32_e32 v[0:1], v0
	v_add_co_u32_e32 v8, vcc, s0, v8
	v_mul_f64 v[0:1], v[0:1], s[4:5]
	v_cvt_f32_f64_e32 v6, v[6:7]
	v_cvt_f32_f64_e32 v4, v[4:5]
	v_mul_f32_e32 v5, v40, v3
	v_fmac_f32_e32 v5, v39, v2
	v_mul_f32_e32 v2, v40, v2
	v_fma_f32 v2, v39, v3, -v2
	v_cvt_f32_f64_e32 v7, v[10:11]
	v_cvt_f64_f32_e32 v[2:3], v2
	v_mov_b32_e32 v10, s1
	v_addc_co_u32_e32 v9, vcc, v9, v10, vcc
	global_store_dwordx2 v[8:9], v[6:7], off
	v_cvt_f64_f32_e32 v[6:7], v5
	v_cvt_f32_f64_e32 v5, v[0:1]
	v_mul_f64 v[10:11], v[2:3], s[4:5]
	ds_read2_b64 v[0:3], v55 offset0:150 offset1:175
	v_add_co_u32_e32 v8, vcc, s0, v8
	v_addc_co_u32_e32 v9, vcc, v9, v12, vcc
	global_store_dwordx2 v[8:9], v[4:5], off
	s_waitcnt lgkmcnt(0)
	v_mul_f32_e32 v4, v42, v1
	v_fmac_f32_e32 v4, v41, v0
	v_cvt_f64_f32_e32 v[4:5], v4
	v_mul_f64 v[6:7], v[6:7], s[4:5]
	v_mul_f32_e32 v0, v42, v0
	v_fma_f32 v0, v41, v1, -v0
	v_mul_f64 v[4:5], v[4:5], s[4:5]
	v_cvt_f64_f32_e32 v[0:1], v0
	v_add_co_u32_e32 v8, vcc, s0, v8
	v_cvt_f32_f64_e32 v6, v[6:7]
	v_cvt_f32_f64_e32 v7, v[10:11]
	v_mov_b32_e32 v10, s1
	v_mul_f64 v[0:1], v[0:1], s[4:5]
	v_cvt_f32_f64_e32 v4, v[4:5]
	v_mul_f32_e32 v5, v38, v3
	v_addc_co_u32_e32 v9, vcc, v9, v10, vcc
	v_fmac_f32_e32 v5, v37, v2
	global_store_dwordx2 v[8:9], v[6:7], off
	v_cvt_f64_f32_e32 v[6:7], v5
	v_mul_f32_e32 v2, v38, v2
	v_fma_f32 v2, v37, v3, -v2
	v_cvt_f64_f32_e32 v[2:3], v2
	v_mul_f64 v[6:7], v[6:7], s[4:5]
	v_cvt_f32_f64_e32 v5, v[0:1]
	v_mov_b32_e32 v0, s1
	v_add_co_u32_e32 v8, vcc, s0, v8
	v_mul_f64 v[10:11], v[2:3], s[4:5]
	v_addc_co_u32_e32 v9, vcc, v9, v0, vcc
	ds_read2_b64 v[0:3], v55 offset0:200 offset1:225
	global_store_dwordx2 v[8:9], v[4:5], off
	v_cvt_f32_f64_e32 v4, v[6:7]
	v_add_co_u32_e32 v8, vcc, s0, v8
	s_waitcnt lgkmcnt(0)
	v_mul_f32_e32 v6, v35, v1
	v_fmac_f32_e32 v6, v34, v0
	v_mul_f32_e32 v0, v35, v0
	v_fma_f32 v0, v34, v1, -v0
	v_cvt_f32_f64_e32 v5, v[10:11]
	v_cvt_f64_f32_e32 v[6:7], v6
	v_cvt_f64_f32_e32 v[0:1], v0
	v_mov_b32_e32 v10, s1
	v_addc_co_u32_e32 v9, vcc, v9, v10, vcc
	global_store_dwordx2 v[8:9], v[4:5], off
	v_mul_f64 v[4:5], v[6:7], s[4:5]
	v_mul_f64 v[0:1], v[0:1], s[4:5]
	v_mul_f32_e32 v6, v33, v3
	v_fmac_f32_e32 v6, v32, v2
	v_mul_f32_e32 v2, v33, v2
	v_fma_f32 v2, v32, v3, -v2
	v_cvt_f64_f32_e32 v[6:7], v6
	v_cvt_f64_f32_e32 v[2:3], v2
	v_cvt_f32_f64_e32 v4, v[4:5]
	v_cvt_f32_f64_e32 v5, v[0:1]
	v_mul_f64 v[0:1], v[6:7], s[4:5]
	v_mul_f64 v[2:3], v[2:3], s[4:5]
	v_mov_b32_e32 v7, s1
	v_add_co_u32_e32 v6, vcc, s0, v8
	v_addc_co_u32_e32 v7, vcc, v9, v7, vcc
	global_store_dwordx2 v[6:7], v[4:5], off
	v_cvt_f32_f64_e32 v0, v[0:1]
	v_cvt_f32_f64_e32 v1, v[2:3]
	v_mov_b32_e32 v3, s1
	v_add_co_u32_e32 v2, vcc, s0, v6
	v_addc_co_u32_e32 v3, vcc, v7, v3, vcc
	global_store_dwordx2 v[2:3], v[0:1], off
.LBB0_2:
	s_endpgm
	.section	.rodata,"a",@progbits
	.p2align	6, 0x0
	.amdhsa_kernel bluestein_single_fwd_len250_dim1_sp_op_CI_CI
		.amdhsa_group_segment_fixed_size 10000
		.amdhsa_private_segment_fixed_size 0
		.amdhsa_kernarg_size 104
		.amdhsa_user_sgpr_count 6
		.amdhsa_user_sgpr_private_segment_buffer 1
		.amdhsa_user_sgpr_dispatch_ptr 0
		.amdhsa_user_sgpr_queue_ptr 0
		.amdhsa_user_sgpr_kernarg_segment_ptr 1
		.amdhsa_user_sgpr_dispatch_id 0
		.amdhsa_user_sgpr_flat_scratch_init 0
		.amdhsa_user_sgpr_private_segment_size 0
		.amdhsa_uses_dynamic_stack 0
		.amdhsa_system_sgpr_private_segment_wavefront_offset 0
		.amdhsa_system_sgpr_workgroup_id_x 1
		.amdhsa_system_sgpr_workgroup_id_y 0
		.amdhsa_system_sgpr_workgroup_id_z 0
		.amdhsa_system_sgpr_workgroup_info 0
		.amdhsa_system_vgpr_workitem_id 0
		.amdhsa_next_free_vgpr 102
		.amdhsa_next_free_sgpr 20
		.amdhsa_reserve_vcc 1
		.amdhsa_reserve_flat_scratch 0
		.amdhsa_float_round_mode_32 0
		.amdhsa_float_round_mode_16_64 0
		.amdhsa_float_denorm_mode_32 3
		.amdhsa_float_denorm_mode_16_64 3
		.amdhsa_dx10_clamp 1
		.amdhsa_ieee_mode 1
		.amdhsa_fp16_overflow 0
		.amdhsa_exception_fp_ieee_invalid_op 0
		.amdhsa_exception_fp_denorm_src 0
		.amdhsa_exception_fp_ieee_div_zero 0
		.amdhsa_exception_fp_ieee_overflow 0
		.amdhsa_exception_fp_ieee_underflow 0
		.amdhsa_exception_fp_ieee_inexact 0
		.amdhsa_exception_int_div_zero 0
	.end_amdhsa_kernel
	.text
.Lfunc_end0:
	.size	bluestein_single_fwd_len250_dim1_sp_op_CI_CI, .Lfunc_end0-bluestein_single_fwd_len250_dim1_sp_op_CI_CI
                                        ; -- End function
	.section	.AMDGPU.csdata,"",@progbits
; Kernel info:
; codeLenInByte = 8248
; NumSgprs: 24
; NumVgprs: 102
; ScratchSize: 0
; MemoryBound: 0
; FloatMode: 240
; IeeeMode: 1
; LDSByteSize: 10000 bytes/workgroup (compile time only)
; SGPRBlocks: 2
; VGPRBlocks: 25
; NumSGPRsForWavesPerEU: 24
; NumVGPRsForWavesPerEU: 102
; Occupancy: 2
; WaveLimiterHint : 1
; COMPUTE_PGM_RSRC2:SCRATCH_EN: 0
; COMPUTE_PGM_RSRC2:USER_SGPR: 6
; COMPUTE_PGM_RSRC2:TRAP_HANDLER: 0
; COMPUTE_PGM_RSRC2:TGID_X_EN: 1
; COMPUTE_PGM_RSRC2:TGID_Y_EN: 0
; COMPUTE_PGM_RSRC2:TGID_Z_EN: 0
; COMPUTE_PGM_RSRC2:TIDIG_COMP_CNT: 0
	.type	__hip_cuid_8b50357a033514e3,@object ; @__hip_cuid_8b50357a033514e3
	.section	.bss,"aw",@nobits
	.globl	__hip_cuid_8b50357a033514e3
__hip_cuid_8b50357a033514e3:
	.byte	0                               ; 0x0
	.size	__hip_cuid_8b50357a033514e3, 1

	.ident	"AMD clang version 19.0.0git (https://github.com/RadeonOpenCompute/llvm-project roc-6.4.0 25133 c7fe45cf4b819c5991fe208aaa96edf142730f1d)"
	.section	".note.GNU-stack","",@progbits
	.addrsig
	.addrsig_sym __hip_cuid_8b50357a033514e3
	.amdgpu_metadata
---
amdhsa.kernels:
  - .args:
      - .actual_access:  read_only
        .address_space:  global
        .offset:         0
        .size:           8
        .value_kind:     global_buffer
      - .actual_access:  read_only
        .address_space:  global
        .offset:         8
        .size:           8
        .value_kind:     global_buffer
      - .actual_access:  read_only
        .address_space:  global
        .offset:         16
        .size:           8
        .value_kind:     global_buffer
      - .actual_access:  read_only
        .address_space:  global
        .offset:         24
        .size:           8
        .value_kind:     global_buffer
      - .actual_access:  read_only
        .address_space:  global
        .offset:         32
        .size:           8
        .value_kind:     global_buffer
      - .offset:         40
        .size:           8
        .value_kind:     by_value
      - .address_space:  global
        .offset:         48
        .size:           8
        .value_kind:     global_buffer
      - .address_space:  global
        .offset:         56
        .size:           8
        .value_kind:     global_buffer
      - .address_space:  global
        .offset:         64
        .size:           8
        .value_kind:     global_buffer
      - .address_space:  global
        .offset:         72
        .size:           8
        .value_kind:     global_buffer
      - .offset:         80
        .size:           4
        .value_kind:     by_value
      - .address_space:  global
        .offset:         88
        .size:           8
        .value_kind:     global_buffer
      - .address_space:  global
        .offset:         96
        .size:           8
        .value_kind:     global_buffer
    .group_segment_fixed_size: 10000
    .kernarg_segment_align: 8
    .kernarg_segment_size: 104
    .language:       OpenCL C
    .language_version:
      - 2
      - 0
    .max_flat_workgroup_size: 125
    .name:           bluestein_single_fwd_len250_dim1_sp_op_CI_CI
    .private_segment_fixed_size: 0
    .sgpr_count:     24
    .sgpr_spill_count: 0
    .symbol:         bluestein_single_fwd_len250_dim1_sp_op_CI_CI.kd
    .uniform_work_group_size: 1
    .uses_dynamic_stack: false
    .vgpr_count:     102
    .vgpr_spill_count: 0
    .wavefront_size: 64
amdhsa.target:   amdgcn-amd-amdhsa--gfx906
amdhsa.version:
  - 1
  - 2
...

	.end_amdgpu_metadata
